;; amdgpu-corpus repo=ROCm/rocFFT kind=compiled arch=gfx950 opt=O3
	.text
	.amdgcn_target "amdgcn-amd-amdhsa--gfx950"
	.amdhsa_code_object_version 6
	.protected	fft_rtc_fwd_len128_factors_16_8_wgs_256_tpt_16_sp_op_CI_CI_sbcc_twdbase8_3step ; -- Begin function fft_rtc_fwd_len128_factors_16_8_wgs_256_tpt_16_sp_op_CI_CI_sbcc_twdbase8_3step
	.globl	fft_rtc_fwd_len128_factors_16_8_wgs_256_tpt_16_sp_op_CI_CI_sbcc_twdbase8_3step
	.p2align	8
	.type	fft_rtc_fwd_len128_factors_16_8_wgs_256_tpt_16_sp_op_CI_CI_sbcc_twdbase8_3step,@function
fft_rtc_fwd_len128_factors_16_8_wgs_256_tpt_16_sp_op_CI_CI_sbcc_twdbase8_3step: ; @fft_rtc_fwd_len128_factors_16_8_wgs_256_tpt_16_sp_op_CI_CI_sbcc_twdbase8_3step
; %bb.0:
	s_load_dwordx4 s[20:23], s[0:1], 0x18
	s_load_dwordx2 s[34:35], s[0:1], 0x28
	s_mov_b32 s3, 0
	s_mov_b64 s[24:25], 0
	s_waitcnt lgkmcnt(0)
	s_load_dwordx2 s[30:31], s[20:21], 0x8
	s_waitcnt lgkmcnt(0)
	s_add_u32 s4, s30, -1
	s_addc_u32 s5, s31, -1
	s_lshr_b64 s[4:5], s[4:5], 4
	s_add_u32 s36, s4, 1
	s_addc_u32 s37, s5, 0
	v_mov_b64_e32 v[2:3], s[36:37]
	v_cmp_lt_u64_e32 vcc, s[2:3], v[2:3]
	s_cbranch_vccnz .LBB0_2
; %bb.1:
	v_cvt_f32_u32_e32 v1, s36
	s_sub_i32 s4, 0, s36
	s_mov_b32 s25, s3
	v_rcp_iflag_f32_e32 v1, v1
	s_nop 0
	v_mul_f32_e32 v1, 0x4f7ffffe, v1
	v_cvt_u32_f32_e32 v1, v1
	s_nop 0
	v_readfirstlane_b32 s5, v1
	s_mul_i32 s4, s4, s5
	s_mul_hi_u32 s4, s5, s4
	s_add_i32 s5, s5, s4
	s_mul_hi_u32 s4, s2, s5
	s_mul_i32 s6, s4, s36
	s_sub_i32 s6, s2, s6
	s_add_i32 s5, s4, 1
	s_sub_i32 s7, s6, s36
	s_cmp_ge_u32 s6, s36
	s_cselect_b32 s4, s5, s4
	s_cselect_b32 s6, s7, s6
	s_add_i32 s5, s4, 1
	s_cmp_ge_u32 s6, s36
	s_cselect_b32 s24, s5, s4
.LBB0_2:
	s_load_dwordx4 s[8:11], s[0:1], 0x60
	s_load_dwordx4 s[16:19], s[22:23], 0x0
	;; [unrolled: 1-line block ×3, first 2 shown]
	s_load_dwordx2 s[26:27], s[0:1], 0x0
	s_load_dwordx4 s[12:15], s[0:1], 0x8
	s_mul_i32 s0, s24, s37
	s_mul_hi_u32 s1, s24, s36
	s_add_i32 s1, s1, s0
	s_mul_i32 s0, s24, s36
	s_sub_u32 s0, s2, s0
	s_subb_u32 s1, 0, s1
	v_mov_b32_e32 v1, s0
	s_lshl_b64 s[28:29], s[0:1], 4
	v_alignbit_b32 v1, s1, v1, 28
	s_waitcnt lgkmcnt(0)
	v_mul_lo_u32 v2, s18, v1
	s_mul_hi_u32 s0, s18, s28
	v_add_u32_e32 v2, s0, v2
	s_mul_i32 s0, s19, s28
	v_add_u32_e32 v3, s0, v2
	s_mul_i32 s0, s18, s28
	v_mov_b32_e32 v2, s0
	v_mul_lo_u32 v1, s6, v1
	s_mul_hi_u32 s0, s6, s28
	v_add_u32_e32 v1, s0, v1
	s_mul_i32 s0, s7, s28
	v_add_u32_e32 v29, s0, v1
	s_mul_i32 s0, s6, s28
	v_mov_b32_e32 v28, s0
	v_cmp_lt_u64_e64 s[0:1], s[14:15], 3
	s_and_b64 vcc, exec, s[0:1]
	s_cbranch_vccnz .LBB0_11
; %bb.3:
	s_add_u32 s38, s34, 16
	s_addc_u32 s39, s35, 0
	s_add_u32 s40, s22, 16
	s_addc_u32 s41, s23, 0
	s_add_u32 s20, s20, 16
	s_addc_u32 s21, s21, 0
	s_mov_b64 s[42:43], 2
	s_mov_b32 s44, 0
	v_mov_b64_e32 v[4:5], s[14:15]
	s_branch .LBB0_5
.LBB0_4:                                ;   in Loop: Header=BB0_5 Depth=1
	s_mul_i32 s33, s46, s37
	s_mul_hi_u32 s37, s46, s36
	s_add_i32 s33, s37, s33
	s_mul_i32 s37, s47, s36
	s_add_i32 s37, s33, s37
	s_mul_i32 s33, s0, s47
	s_mul_hi_u32 s45, s0, s46
	s_load_dwordx2 s[48:49], s[40:41], 0x0
	s_add_i32 s33, s45, s33
	s_mul_i32 s45, s1, s46
	s_add_i32 s33, s33, s45
	s_mul_i32 s45, s0, s46
	s_sub_u32 s45, s24, s45
	s_subb_u32 s33, s25, s33
	s_waitcnt lgkmcnt(0)
	s_mul_i32 s24, s48, s33
	s_mul_hi_u32 s25, s48, s45
	s_mul_i32 s36, s46, s36
	s_add_i32 s46, s25, s24
	s_load_dwordx2 s[24:25], s[38:39], 0x0
	s_mul_i32 s47, s49, s45
	s_add_i32 s47, s46, s47
	s_mul_i32 s46, s48, s45
	v_lshl_add_u64 v[2:3], s[46:47], 0, v[2:3]
	s_waitcnt lgkmcnt(0)
	s_mul_i32 s33, s24, s33
	s_mul_hi_u32 s46, s24, s45
	s_add_i32 s33, s46, s33
	s_mul_i32 s25, s25, s45
	s_add_i32 s25, s33, s25
	s_add_u32 s42, s42, 1
	s_addc_u32 s43, s43, 0
	s_add_u32 s38, s38, 8
	s_addc_u32 s39, s39, 0
	;; [unrolled: 2-line block ×3, first 2 shown]
	s_mul_i32 s24, s24, s45
	s_add_u32 s20, s20, 8
	v_cmp_ge_u64_e32 vcc, s[42:43], v[4:5]
	v_lshl_add_u64 v[28:29], s[24:25], 0, v[28:29]
	s_addc_u32 s21, s21, 0
	s_mov_b64 s[24:25], s[0:1]
	s_cbranch_vccnz .LBB0_9
.LBB0_5:                                ; =>This Inner Loop Header: Depth=1
	s_load_dwordx2 s[46:47], s[20:21], 0x0
	s_waitcnt lgkmcnt(0)
	s_or_b64 s[0:1], s[24:25], s[46:47]
	s_mov_b32 s45, s1
	s_cmp_lg_u64 s[44:45], 0
	s_cbranch_scc0 .LBB0_7
; %bb.6:                                ;   in Loop: Header=BB0_5 Depth=1
	v_cvt_f32_u32_e32 v1, s46
	v_cvt_f32_u32_e32 v6, s47
	s_sub_u32 s0, 0, s46
	s_subb_u32 s1, 0, s47
	v_fmac_f32_e32 v1, 0x4f800000, v6
	v_rcp_f32_e32 v1, v1
	s_nop 0
	v_mul_f32_e32 v1, 0x5f7ffffc, v1
	v_mul_f32_e32 v6, 0x2f800000, v1
	v_trunc_f32_e32 v6, v6
	v_fmac_f32_e32 v1, 0xcf800000, v6
	v_cvt_u32_f32_e32 v6, v6
	v_cvt_u32_f32_e32 v1, v1
	v_readfirstlane_b32 s33, v6
	v_readfirstlane_b32 s45, v1
	s_mul_i32 s48, s0, s33
	s_mul_hi_u32 s50, s0, s45
	s_mul_i32 s49, s1, s45
	s_add_i32 s48, s50, s48
	s_mul_i32 s51, s0, s45
	s_add_i32 s48, s48, s49
	s_mul_hi_u32 s49, s45, s48
	s_mul_i32 s50, s45, s48
	s_mul_hi_u32 s45, s45, s51
	s_add_u32 s45, s45, s50
	s_addc_u32 s49, 0, s49
	s_mul_hi_u32 s52, s33, s51
	s_mul_i32 s51, s33, s51
	s_add_u32 s45, s45, s51
	s_mul_hi_u32 s50, s33, s48
	s_addc_u32 s45, s49, s52
	s_addc_u32 s49, s50, 0
	s_mul_i32 s48, s33, s48
	s_add_u32 s45, s45, s48
	s_addc_u32 s48, 0, s49
	v_add_co_u32_e32 v1, vcc, s45, v1
	s_cmp_lg_u64 vcc, 0
	s_addc_u32 s33, s33, s48
	v_readfirstlane_b32 s48, v1
	s_mul_i32 s45, s0, s33
	s_mul_hi_u32 s49, s0, s48
	s_add_i32 s45, s49, s45
	s_mul_i32 s1, s1, s48
	s_add_i32 s45, s45, s1
	s_mul_i32 s0, s0, s48
	s_mul_hi_u32 s49, s33, s0
	s_mul_i32 s50, s33, s0
	s_mul_i32 s52, s48, s45
	s_mul_hi_u32 s0, s48, s0
	s_mul_hi_u32 s51, s48, s45
	s_add_u32 s0, s0, s52
	s_addc_u32 s48, 0, s51
	s_add_u32 s0, s0, s50
	s_mul_hi_u32 s1, s33, s45
	s_addc_u32 s0, s48, s49
	s_addc_u32 s1, s1, 0
	s_mul_i32 s45, s33, s45
	s_add_u32 s0, s0, s45
	s_addc_u32 s1, 0, s1
	v_add_co_u32_e32 v1, vcc, s0, v1
	s_cmp_lg_u64 vcc, 0
	s_addc_u32 s0, s33, s1
	v_readfirstlane_b32 s45, v1
	s_mul_i32 s33, s24, s0
	s_mul_hi_u32 s48, s24, s45
	s_mul_hi_u32 s1, s24, s0
	s_add_u32 s33, s48, s33
	s_addc_u32 s1, 0, s1
	s_mul_hi_u32 s49, s25, s45
	s_mul_i32 s45, s25, s45
	s_add_u32 s33, s33, s45
	s_mul_hi_u32 s48, s25, s0
	s_addc_u32 s1, s1, s49
	s_addc_u32 s33, s48, 0
	s_mul_i32 s0, s25, s0
	s_add_u32 s45, s1, s0
	s_addc_u32 s33, 0, s33
	s_mul_i32 s0, s46, s33
	s_mul_hi_u32 s1, s46, s45
	s_add_i32 s0, s1, s0
	s_mul_i32 s1, s47, s45
	s_add_i32 s48, s0, s1
	s_mul_i32 s1, s46, s45
	v_mov_b32_e32 v1, s1
	s_sub_i32 s0, s25, s48
	v_sub_co_u32_e32 v1, vcc, s24, v1
	s_cmp_lg_u64 vcc, 0
	s_subb_u32 s49, s0, s47
	v_subrev_co_u32_e64 v6, s[0:1], s46, v1
	s_cmp_lg_u64 s[0:1], 0
	s_subb_u32 s0, s49, 0
	s_cmp_ge_u32 s0, s47
	v_readfirstlane_b32 s49, v6
	s_cselect_b32 s1, -1, 0
	s_cmp_ge_u32 s49, s46
	s_cselect_b32 s49, -1, 0
	s_cmp_eq_u32 s0, s47
	s_cselect_b32 s0, s49, s1
	s_add_u32 s1, s45, 1
	s_addc_u32 s49, s33, 0
	s_add_u32 s50, s45, 2
	s_addc_u32 s51, s33, 0
	s_cmp_lg_u32 s0, 0
	s_cselect_b32 s0, s50, s1
	s_cselect_b32 s1, s51, s49
	s_cmp_lg_u64 vcc, 0
	s_subb_u32 s48, s25, s48
	s_cmp_ge_u32 s48, s47
	v_readfirstlane_b32 s50, v1
	s_cselect_b32 s49, -1, 0
	s_cmp_ge_u32 s50, s46
	s_cselect_b32 s50, -1, 0
	s_cmp_eq_u32 s48, s47
	s_cselect_b32 s48, s50, s49
	s_cmp_lg_u32 s48, 0
	s_cselect_b32 s1, s1, s33
	s_cselect_b32 s0, s0, s45
	s_cbranch_execnz .LBB0_4
	s_branch .LBB0_8
.LBB0_7:                                ;   in Loop: Header=BB0_5 Depth=1
                                        ; implicit-def: $sgpr0_sgpr1
.LBB0_8:                                ;   in Loop: Header=BB0_5 Depth=1
	v_cvt_f32_u32_e32 v1, s46
	s_sub_i32 s0, 0, s46
	v_rcp_iflag_f32_e32 v1, v1
	s_nop 0
	v_mul_f32_e32 v1, 0x4f7ffffe, v1
	v_cvt_u32_f32_e32 v1, v1
	s_nop 0
	v_readfirstlane_b32 s1, v1
	s_mul_i32 s0, s0, s1
	s_mul_hi_u32 s0, s1, s0
	s_add_i32 s1, s1, s0
	s_mul_hi_u32 s0, s24, s1
	s_mul_i32 s33, s0, s46
	s_sub_i32 s33, s24, s33
	s_add_i32 s1, s0, 1
	s_sub_i32 s45, s33, s46
	s_cmp_ge_u32 s33, s46
	s_cselect_b32 s0, s1, s0
	s_cselect_b32 s33, s45, s33
	s_add_i32 s1, s0, 1
	s_cmp_ge_u32 s33, s46
	s_cselect_b32 s0, s1, s0
	s_mov_b32 s1, s44
	s_branch .LBB0_4
.LBB0_9:
	v_mov_b64_e32 v[4:5], s[36:37]
	v_cmp_lt_u64_e32 vcc, s[2:3], v[4:5]
	s_mov_b64 s[24:25], 0
	s_cbranch_vccnz .LBB0_11
; %bb.10:
	v_cvt_f32_u32_e32 v1, s36
	s_sub_i32 s0, 0, s36
	v_rcp_iflag_f32_e32 v1, v1
	s_nop 0
	v_mul_f32_e32 v1, 0x4f7ffffe, v1
	v_cvt_u32_f32_e32 v1, v1
	s_nop 0
	v_readfirstlane_b32 s1, v1
	s_mul_i32 s0, s0, s1
	s_mul_hi_u32 s0, s1, s0
	s_add_i32 s1, s1, s0
	s_mul_hi_u32 s0, s2, s1
	s_mul_i32 s3, s0, s36
	s_sub_i32 s2, s2, s3
	s_add_i32 s1, s0, 1
	s_sub_i32 s3, s2, s36
	s_cmp_ge_u32 s2, s36
	s_cselect_b32 s0, s1, s0
	s_cselect_b32 s2, s3, s2
	s_add_i32 s1, s0, 1
	s_cmp_ge_u32 s2, s36
	s_cselect_b32 s24, s1, s0
.LBB0_11:
	s_lshl_b64 s[20:21], s[14:15], 3
	s_add_u32 s2, s34, s20
	s_addc_u32 s3, s35, s21
	s_add_u32 s0, s28, 16
	v_and_b32_e32 v56, 15, v0
	v_lshrrev_b32_e32 v48, 4, v0
	s_addc_u32 s1, s29, 0
	v_mov_b64_e32 v[4:5], s[30:31]
	v_or_b32_e32 v0, s28, v56
	v_mov_b32_e32 v1, s29
	v_cmp_le_u64_e32 vcc, s[0:1], v[4:5]
	v_cmp_gt_u64_e64 s[0:1], s[30:31], v[0:1]
	s_or_b64 s[0:1], vcc, s[0:1]
	v_lshlrev_b32_e32 v53, 7, v56
	v_add_u32_e32 v52, 16, v48
	v_add_u32_e32 v51, 32, v48
	;; [unrolled: 1-line block ×3, first 2 shown]
	v_or_b32_e32 v49, 64, v48
	v_lshlrev_b32_e32 v54, 10, v56
	v_lshlrev_b32_e32 v55, 3, v48
	s_and_saveexec_b64 s[14:15], s[0:1]
	s_cbranch_execz .LBB0_13
; %bb.12:
	s_add_u32 s20, s22, s20
	s_addc_u32 s21, s23, s21
	s_load_dwordx2 s[20:21], s[20:21], 0x0
	v_mad_u64_u32 v[0:1], s[22:23], s18, v56, 0
	v_mov_b32_e32 v4, v1
	v_lshlrev_b64 v[2:3], 3, v[2:3]
	s_waitcnt lgkmcnt(0)
	s_mul_i32 s18, s21, s24
	s_mul_hi_u32 s21, s20, s24
	s_add_i32 s21, s21, s18
	v_mad_u64_u32 v[4:5], s[18:19], s19, v56, v[4:5]
	v_mov_b32_e32 v1, v4
	v_mad_u64_u32 v[4:5], s[18:19], s16, v48, 0
	v_mov_b32_e32 v6, v5
	s_mul_i32 s20, s20, s24
	v_mad_u64_u32 v[6:7], s[18:19], s17, v48, v[6:7]
	s_lshl_b64 s[18:19], s[20:21], 3
	s_add_u32 s8, s8, s18
	s_addc_u32 s9, s9, s19
	v_lshl_add_u64 v[2:3], s[8:9], 0, v[2:3]
	v_mov_b32_e32 v5, v6
	v_lshl_add_u64 v[0:1], v[0:1], 3, v[2:3]
	v_lshl_add_u64 v[2:3], v[4:5], 3, v[0:1]
	v_mad_u64_u32 v[4:5], s[8:9], s16, v52, 0
	v_mov_b32_e32 v6, v5
	v_mad_u64_u32 v[6:7], s[8:9], s17, v52, v[6:7]
	v_mov_b32_e32 v5, v6
	;; [unrolled: 2-line block ×6, first 2 shown]
	v_lshl_add_u64 v[4:5], v[4:5], 3, v[0:1]
	v_lshl_add_u64 v[6:7], v[6:7], 3, v[0:1]
	;; [unrolled: 1-line block ×3, first 2 shown]
	global_load_dwordx2 v[10:11], v[2:3], off
	global_load_dwordx2 v[12:13], v[4:5], off
	;; [unrolled: 1-line block ×4, first 2 shown]
	v_mad_u64_u32 v[2:3], s[8:9], s16, v49, 0
	v_mov_b32_e32 v4, v3
	v_mad_u64_u32 v[4:5], s[8:9], s17, v49, v[4:5]
	v_add_u32_e32 v7, 0x50, v48
	v_mov_b32_e32 v3, v4
	v_mad_u64_u32 v[4:5], s[8:9], s16, v7, 0
	v_mov_b32_e32 v6, v5
	v_mad_u64_u32 v[6:7], s[8:9], s17, v7, v[6:7]
	v_add_u32_e32 v9, 0x60, v48
	v_mov_b32_e32 v5, v6
	;; [unrolled: 5-line block ×3, first 2 shown]
	v_mad_u64_u32 v[8:9], s[8:9], s16, v19, 0
	v_mov_b32_e32 v18, v9
	v_mad_u64_u32 v[18:19], s[8:9], s17, v19, v[18:19]
	v_lshl_add_u64 v[2:3], v[2:3], 3, v[0:1]
	v_mov_b32_e32 v9, v18
	v_lshl_add_u64 v[4:5], v[4:5], 3, v[0:1]
	v_lshl_add_u64 v[6:7], v[6:7], 3, v[0:1]
	;; [unrolled: 1-line block ×3, first 2 shown]
	global_load_dwordx2 v[8:9], v[2:3], off
	global_load_dwordx2 v[18:19], v[4:5], off
	;; [unrolled: 1-line block ×4, first 2 shown]
	v_or_b32_e32 v0, v53, v48
	v_add_u32_e32 v1, v53, v48
	v_lshl_add_u32 v0, v0, 3, 0
	v_add3_u32 v2, 0, v54, v55
	v_lshl_add_u32 v1, v1, 3, 0
	s_waitcnt vmcnt(7)
	ds_write_b64 v0, v[10:11]
	s_waitcnt vmcnt(5)
	ds_write2_b64 v1, v[12:13], v[14:15] offset0:16 offset1:32
	s_waitcnt vmcnt(3)
	ds_write2_b64 v1, v[16:17], v[8:9] offset0:48 offset1:64
	;; [unrolled: 2-line block ×3, first 2 shown]
	s_waitcnt vmcnt(0)
	ds_write_b64 v2, v[22:23] offset:896
.LBB0_13:
	s_or_b64 exec, exec, s[14:15]
	v_lshlrev_b32_e32 v0, 7, v48
	v_and_b32_e32 v0, 0x780, v0
	v_lshlrev_b32_e32 v34, 3, v0
	v_lshlrev_b32_e32 v0, 3, v56
	v_add_u32_e32 v35, 0, v0
	v_add_u32_e32 v57, v35, v34
	s_waitcnt lgkmcnt(0)
	s_barrier
	v_add3_u32 v58, 0, v34, v0
	ds_read2_b64 v[0:3], v57 offset0:8 offset1:16
	ds_read2_b64 v[8:11], v57 offset0:24 offset1:32
	;; [unrolled: 1-line block ×7, first 2 shown]
	ds_read_b64 v[30:31], v58
	ds_read_b64 v[32:33], v57 offset:960
	v_cmp_gt_u32_e32 vcc, 8, v56
	s_waitcnt lgkmcnt(0)
	s_barrier
	s_and_saveexec_b64 s[8:9], vcc
	s_cbranch_execz .LBB0_15
; %bb.14:
	v_pk_add_f32 v[18:19], v[2:3], v[18:19] neg_lo:[0,1] neg_hi:[0,1]
	v_pk_add_f32 v[22:23], v[6:7], v[22:23] neg_lo:[0,1] neg_hi:[0,1]
	v_mul_u32_u24_e32 v36, 0x78, v56
	v_pk_add_f32 v[26:27], v[10:11], v[26:27] neg_lo:[0,1] neg_hi:[0,1]
	v_pk_add_f32 v[14:15], v[30:31], v[14:15] neg_lo:[0,1] neg_hi:[0,1]
	v_add3_u32 v46, v35, v36, v34
	v_pk_fma_f32 v[6:7], v[6:7], 2.0, v[22:23] op_sel_hi:[1,0,1] neg_lo:[0,0,1] neg_hi:[0,0,1]
	v_pk_add_f32 v[34:35], v[18:19], v[22:23] op_sel:[0,1] op_sel_hi:[1,0] neg_lo:[0,1] neg_hi:[0,1]
	v_pk_add_f32 v[22:23], v[18:19], v[22:23] op_sel:[0,1] op_sel_hi:[1,0]
	v_pk_add_f32 v[24:25], v[8:9], v[24:25] neg_lo:[0,1] neg_hi:[0,1]
	v_pk_add_f32 v[32:33], v[12:13], v[32:33] neg_lo:[0,1] neg_hi:[0,1]
	v_pk_fma_f32 v[10:11], v[10:11], 2.0, v[26:27] op_sel_hi:[1,0,1] neg_lo:[0,0,1] neg_hi:[0,0,1]
	v_mov_b32_e32 v35, v23
	v_pk_add_f32 v[22:23], v[14:15], v[26:27] op_sel:[0,1] op_sel_hi:[1,0] neg_lo:[0,1] neg_hi:[0,1]
	v_pk_add_f32 v[26:27], v[14:15], v[26:27] op_sel:[0,1] op_sel_hi:[1,0]
	v_pk_add_f32 v[16:17], v[0:1], v[16:17] neg_lo:[0,1] neg_hi:[0,1]
	v_pk_add_f32 v[20:21], v[4:5], v[20:21] neg_lo:[0,1] neg_hi:[0,1]
	v_pk_fma_f32 v[12:13], v[12:13], 2.0, v[32:33] op_sel_hi:[1,0,1] neg_lo:[0,0,1] neg_hi:[0,0,1]
	v_mov_b32_e32 v23, v27
	v_pk_add_f32 v[26:27], v[24:25], v[32:33] op_sel:[0,1] op_sel_hi:[1,0] neg_lo:[0,1] neg_hi:[0,1]
	v_pk_add_f32 v[32:33], v[24:25], v[32:33] op_sel:[0,1] op_sel_hi:[1,0]
	v_pk_fma_f32 v[30:31], v[30:31], 2.0, v[14:15] op_sel_hi:[1,0,1] neg_lo:[0,0,1] neg_hi:[0,0,1]
	v_pk_fma_f32 v[2:3], v[2:3], 2.0, v[18:19] op_sel_hi:[1,0,1] neg_lo:[0,0,1] neg_hi:[0,0,1]
	v_pk_fma_f32 v[4:5], v[4:5], 2.0, v[20:21] op_sel_hi:[1,0,1] neg_lo:[0,0,1] neg_hi:[0,0,1]
	v_mov_b32_e32 v27, v33
	v_pk_add_f32 v[32:33], v[16:17], v[20:21] op_sel:[0,1] op_sel_hi:[1,0] neg_lo:[0,1] neg_hi:[0,1]
	v_pk_add_f32 v[20:21], v[16:17], v[20:21] op_sel:[0,1] op_sel_hi:[1,0]
	v_pk_fma_f32 v[18:19], v[18:19], 2.0, v[34:35] op_sel_hi:[1,0,1] neg_lo:[0,0,1] neg_hi:[0,0,1]
	s_mov_b32 s14, 0x3f3504f3
	v_pk_fma_f32 v[14:15], v[14:15], 2.0, v[22:23] op_sel_hi:[1,0,1] neg_lo:[0,0,1] neg_hi:[0,0,1]
	v_mov_b32_e32 v33, v21
	v_pk_mul_f32 v[20:21], v[18:19], s[14:15] op_sel_hi:[1,0]
	v_pk_fma_f32 v[18:19], v[18:19], s[14:15], v[14:15] op_sel_hi:[1,0,1] neg_lo:[1,0,0] neg_hi:[1,0,0]
	v_pk_fma_f32 v[0:1], v[0:1], 2.0, v[16:17] op_sel_hi:[1,0,1] neg_lo:[0,0,1] neg_hi:[0,0,1]
	v_pk_add_f32 v[36:37], v[18:19], v[20:21] op_sel:[0,1] op_sel_hi:[1,0] neg_lo:[0,1] neg_hi:[0,1]
	v_pk_add_f32 v[18:19], v[18:19], v[20:21] op_sel:[0,1] op_sel_hi:[1,0]
	v_pk_fma_f32 v[20:21], v[24:25], 2.0, v[26:27] op_sel_hi:[1,0,1] neg_lo:[0,0,1] neg_hi:[0,0,1]
	v_pk_fma_f32 v[16:17], v[16:17], 2.0, v[32:33] op_sel_hi:[1,0,1] neg_lo:[0,0,1] neg_hi:[0,0,1]
	;; [unrolled: 1-line block ×3, first 2 shown]
	v_pk_mul_f32 v[24:25], v[20:21], s[14:15] op_sel_hi:[1,0]
	v_pk_fma_f32 v[20:21], v[20:21], s[14:15], v[16:17] op_sel_hi:[1,0,1] neg_lo:[1,0,0] neg_hi:[1,0,0]
	v_pk_add_f32 v[10:11], v[30:31], v[10:11] neg_lo:[0,1] neg_hi:[0,1]
	v_pk_add_f32 v[38:39], v[20:21], v[24:25] op_sel:[0,1] op_sel_hi:[1,0] neg_lo:[0,1] neg_hi:[0,1]
	v_pk_add_f32 v[20:21], v[20:21], v[24:25] op_sel:[0,1] op_sel_hi:[1,0]
	v_pk_add_f32 v[6:7], v[2:3], v[6:7] neg_lo:[0,1] neg_hi:[0,1]
	v_pk_add_f32 v[12:13], v[8:9], v[12:13] neg_lo:[0,1] neg_hi:[0,1]
	;; [unrolled: 1-line block ×3, first 2 shown]
	v_mov_b32_e32 v37, v19
	v_mov_b32_e32 v39, v21
	v_pk_fma_f32 v[30:31], v[30:31], 2.0, v[10:11] op_sel_hi:[1,0,1] neg_lo:[0,0,1] neg_hi:[0,0,1]
	v_pk_fma_f32 v[2:3], v[2:3], 2.0, v[6:7] op_sel_hi:[1,0,1] neg_lo:[0,0,1] neg_hi:[0,0,1]
	;; [unrolled: 1-line block ×4, first 2 shown]
	s_mov_b32 s16, 0x3ec3ef15
	v_fmamk_f32 v18, v38, 0x3ec3ef15, v36
	v_pk_fma_f32 v[16:17], v[16:17], 2.0, v[38:39] op_sel_hi:[1,0,1] neg_lo:[0,0,1] neg_hi:[0,0,1]
	v_pk_fma_f32 v[14:15], v[14:15], 2.0, v[36:37] op_sel_hi:[1,0,1] neg_lo:[0,0,1] neg_hi:[0,0,1]
	s_mov_b32 s18, 0x3f6c835e
	v_pk_add_f32 v[2:3], v[30:31], v[2:3] neg_lo:[0,1] neg_hi:[0,1]
	v_pk_add_f32 v[8:9], v[0:1], v[8:9] neg_lo:[0,1] neg_hi:[0,1]
	v_fmamk_f32 v18, v21, 0xbf6c835e, v18
	v_pk_fma_f32 v[24:25], v[16:17], s[18:19], v[14:15] op_sel_hi:[1,0,1] neg_lo:[1,0,0] neg_hi:[1,0,0]
	v_pk_mul_f32 v[16:17], v[16:17], s[16:17] op_sel_hi:[1,0]
	v_pk_fma_f32 v[30:31], v[30:31], 2.0, v[2:3] op_sel_hi:[1,0,1] neg_lo:[0,0,1] neg_hi:[0,0,1]
	v_pk_fma_f32 v[0:1], v[0:1], 2.0, v[8:9] op_sel_hi:[1,0,1] neg_lo:[0,0,1] neg_hi:[0,0,1]
	v_fma_f32 v20, v36, 2.0, -v18
	v_pk_add_f32 v[36:37], v[24:25], v[16:17] op_sel:[0,1] op_sel_hi:[1,0] neg_lo:[0,1] neg_hi:[0,1]
	v_pk_add_f32 v[16:17], v[24:25], v[16:17] op_sel:[0,1] op_sel_hi:[1,0]
	v_pk_add_f32 v[0:1], v[30:31], v[0:1] neg_lo:[0,1] neg_hi:[0,1]
	v_mov_b32_e32 v37, v17
	v_pk_fma_f32 v[30:31], v[30:31], 2.0, v[0:1] op_sel_hi:[1,0,1] neg_lo:[0,0,1] neg_hi:[0,0,1]
	v_pk_fma_f32 v[14:15], v[14:15], 2.0, v[36:37] op_sel_hi:[1,0,1] neg_lo:[0,0,1] neg_hi:[0,0,1]
	ds_write2_b64 v46, v[30:31], v[14:15] offset1:1
	v_pk_add_f32 v[14:15], v[10:11], v[6:7] op_sel:[0,1] op_sel_hi:[1,0] neg_lo:[0,1] neg_hi:[0,1]
	v_pk_add_f32 v[6:7], v[10:11], v[6:7] op_sel:[0,1] op_sel_hi:[1,0]
	v_pk_add_f32 v[24:25], v[4:5], v[12:13] op_sel:[0,1] op_sel_hi:[1,0] neg_lo:[0,1] neg_hi:[0,1]
	v_pk_add_f32 v[12:13], v[4:5], v[12:13] op_sel:[0,1] op_sel_hi:[1,0]
	v_mov_b32_e32 v15, v7
	v_mov_b32_e32 v25, v13
	v_pk_fma_f32 v[4:5], v[4:5], 2.0, v[24:25] op_sel_hi:[1,0,1] neg_lo:[0,0,1] neg_hi:[0,0,1]
	v_pk_fma_f32 v[10:11], v[10:11], 2.0, v[14:15] op_sel_hi:[1,0,1] neg_lo:[0,0,1] neg_hi:[0,0,1]
	v_pk_mul_f32 v[30:31], v[4:5], s[14:15] op_sel_hi:[1,0]
	v_pk_fma_f32 v[4:5], v[4:5], s[14:15], v[10:11] op_sel_hi:[1,0,1] neg_lo:[1,0,0] neg_hi:[1,0,0]
	v_mov_b32_e32 v39, v13
	v_pk_add_f32 v[40:41], v[4:5], v[30:31] op_sel:[0,1] op_sel_hi:[1,0] neg_lo:[0,1] neg_hi:[0,1]
	v_pk_add_f32 v[4:5], v[4:5], v[30:31] op_sel:[0,1] op_sel_hi:[1,0]
	v_pk_mul_f32 v[30:31], v[34:35], s[14:15] op_sel_hi:[1,0]
	v_pk_fma_f32 v[34:35], v[34:35], s[14:15], v[22:23] op_sel_hi:[1,0,1]
	v_mov_b32_e32 v41, v5
	v_pk_add_f32 v[42:43], v[34:35], v[30:31] op_sel:[0,1] op_sel_hi:[1,0] neg_lo:[0,1] neg_hi:[0,1]
	v_pk_add_f32 v[30:31], v[34:35], v[30:31] op_sel:[0,1] op_sel_hi:[1,0]
	v_pk_mul_f32 v[34:35], v[26:27], s[14:15] op_sel_hi:[1,0]
	v_pk_fma_f32 v[26:27], v[26:27], s[14:15], v[32:33] op_sel_hi:[1,0,1]
	v_mov_b32_e32 v43, v31
	v_pk_add_f32 v[44:45], v[26:27], v[34:35] op_sel:[0,1] op_sel_hi:[1,0] neg_lo:[0,1] neg_hi:[0,1]
	v_pk_add_f32 v[26:27], v[26:27], v[34:35] op_sel:[0,1] op_sel_hi:[1,0]
	v_pk_fma_f32 v[22:23], v[22:23], 2.0, v[42:43] op_sel_hi:[1,0,1] neg_lo:[0,0,1] neg_hi:[0,0,1]
	v_fmamk_f32 v4, v27, 0x3f6c835e, v31
	v_mov_b32_e32 v45, v27
	v_fmac_f32_e32 v4, 0x3ec3ef15, v44
	v_fma_f32 v6, v31, 2.0, -v4
	v_pk_fma_f32 v[30:31], v[32:33], 2.0, v[44:45] op_sel_hi:[1,0,1] neg_lo:[0,0,1] neg_hi:[0,0,1]
	v_pk_fma_f32 v[10:11], v[10:11], 2.0, v[40:41] op_sel_hi:[1,0,1] neg_lo:[0,0,1] neg_hi:[0,0,1]
	v_pk_fma_f32 v[32:33], v[30:31], s[16:17], v[22:23] op_sel_hi:[1,0,1] neg_lo:[1,0,0] neg_hi:[1,0,0]
	v_pk_mul_f32 v[30:31], v[30:31], s[18:19] op_sel_hi:[1,0]
	s_mov_b32 s17, s14
	v_pk_add_f32 v[34:35], v[32:33], v[30:31] op_sel:[0,1] op_sel_hi:[1,0] neg_lo:[0,1] neg_hi:[0,1]
	v_pk_add_f32 v[30:31], v[32:33], v[30:31] op_sel:[0,1] op_sel_hi:[1,0]
	v_fmamk_f32 v12, v44, 0x3f6c835e, v42
	v_mov_b32_e32 v35, v31
	v_pk_fma_f32 v[22:23], v[22:23], 2.0, v[34:35] op_sel_hi:[1,0,1] neg_lo:[0,0,1] neg_hi:[0,0,1]
	ds_write2_b64 v46, v[10:11], v[22:23] offset0:2 offset1:3
	v_pk_add_f32 v[10:11], v[2:3], v[8:9] op_sel:[0,1] op_sel_hi:[1,0] neg_lo:[0,1] neg_hi:[0,1]
	v_pk_add_f32 v[8:9], v[2:3], v[8:9] op_sel:[0,1] op_sel_hi:[1,0]
	s_mov_b32 s19, s14
	v_mov_b32_e32 v11, v9
	v_pk_fma_f32 v[2:3], v[2:3], 2.0, v[10:11] op_sel_hi:[1,0,1] neg_lo:[0,0,1] neg_hi:[0,0,1]
	ds_write_b64 v46, v[2:3] offset:32
	v_mov_b32_e32 v2, v21
	v_mov_b32_e32 v3, v24
	;; [unrolled: 1-line block ×4, first 2 shown]
	v_pk_fma_f32 v[2:3], v[2:3], s[16:17], v[8:9]
	v_fmamk_f32 v27, v27, 0xbec3ef15, v12
	v_fmamk_f32 v26, v13, 0x3f3504f3, v7
	v_pk_fma_f32 v[12:13], v[38:39], s[18:19], v[2:3]
	v_pk_fma_f32 v[2:3], v[38:39], s[18:19], v[2:3] neg_lo:[1,0,0] neg_hi:[1,0,0]
	v_fmac_f32_e32 v26, 0x3f3504f3, v24
	v_mov_b32_e32 v13, v3
	v_pk_fma_f32 v[2:3], v[8:9], 2.0, v[12:13] op_sel_hi:[1,0,1] neg_lo:[0,0,1] neg_hi:[0,0,1]
	ds_write2_b32 v46, v2, v3 offset0:11 offset1:12
	v_mov_b32_e32 v2, v7
	v_mov_b32_e32 v3, v42
	v_pk_fma_f32 v[2:3], v[2:3], 2.0, v[26:27] op_sel_hi:[1,0,1] neg_lo:[0,0,1] neg_hi:[0,0,1]
	ds_write2_b32 v46, v2, v3 offset0:13 offset1:14
	ds_write2_b32 v46, v20, v6 offset0:10 offset1:15
	ds_write2_b64 v46, v[0:1], v[36:37] offset0:8 offset1:9
	ds_write2_b64 v46, v[40:41], v[34:35] offset0:10 offset1:11
	ds_write_b64 v46, v[10:11] offset:96
	ds_write2_b32 v46, v12, v13 offset0:27 offset1:28
	ds_write2_b32 v46, v26, v27 offset0:29 offset1:30
	;; [unrolled: 1-line block ×3, first 2 shown]
.LBB0_15:
	s_or_b64 exec, exec, s[8:9]
	v_add_u32_e32 v12, s28, v48
	v_or_b32_e32 v0, 16, v56
	v_mov_b32_e32 v13, 3
	v_mul_lo_u32 v0, v12, v0
	v_lshlrev_b32_sdwa v1, v13, v0 dst_sel:DWORD dst_unused:UNUSED_PAD src0_sel:DWORD src1_sel:BYTE_0
	s_load_dwordx2 s[2:3], s[2:3], 0x0
	s_waitcnt lgkmcnt(0)
	s_barrier
	global_load_dwordx2 v[44:45], v1, s[12:13]
	v_lshlrev_b32_sdwa v1, v13, v0 dst_sel:DWORD dst_unused:UNUSED_PAD src0_sel:DWORD src1_sel:BYTE_1
	global_load_dwordx2 v[46:47], v1, s[12:13] offset:2048
	v_mov_b32_e32 v59, 0x1000
	v_bfe_u32 v0, v0, 16, 8
	v_lshl_or_b32 v0, v0, 3, v59
	global_load_dwordx2 v[40:41], v0, s[12:13]
	v_or_b32_e32 v1, 32, v56
	v_mul_lo_u32 v1, v12, v1
	v_lshlrev_b32_sdwa v0, v13, v1 dst_sel:DWORD dst_unused:UNUSED_PAD src0_sel:DWORD src1_sel:BYTE_0
	v_lshlrev_b32_sdwa v2, v13, v1 dst_sel:DWORD dst_unused:UNUSED_PAD src0_sel:DWORD src1_sel:BYTE_1
	global_load_dwordx2 v[38:39], v0, s[12:13]
	global_load_dwordx2 v[42:43], v2, s[12:13] offset:2048
	v_mul_lo_u32 v4, v12, v56
	v_lshlrev_b32_sdwa v5, v13, v4 dst_sel:DWORD dst_unused:UNUSED_PAD src0_sel:DWORD src1_sel:BYTE_0
	v_lshlrev_b32_sdwa v6, v13, v4 dst_sel:DWORD dst_unused:UNUSED_PAD src0_sel:DWORD src1_sel:BYTE_1
	global_load_dwordx2 v[2:3], v5, s[12:13]
	global_load_dwordx2 v[30:31], v6, s[12:13] offset:2048
	v_or_b32_e32 v0, 48, v56
	v_bfe_u32 v1, v1, 16, 8
	v_mul_lo_u32 v0, v12, v0
	v_lshl_or_b32 v1, v1, 3, v59
	global_load_dwordx2 v[34:35], v1, s[12:13]
	v_lshlrev_b32_sdwa v1, v13, v0 dst_sel:DWORD dst_unused:UNUSED_PAD src0_sel:DWORD src1_sel:BYTE_0
	v_lshlrev_b32_sdwa v5, v13, v0 dst_sel:DWORD dst_unused:UNUSED_PAD src0_sel:DWORD src1_sel:BYTE_1
	global_load_dwordx2 v[32:33], v1, s[12:13]
	global_load_dwordx2 v[36:37], v5, s[12:13] offset:2048
	v_or_b32_e32 v1, 64, v56
	v_bfe_u32 v0, v0, 16, 8
	v_mul_lo_u32 v5, v12, v1
	v_lshl_or_b32 v0, v0, 3, v59
	global_load_dwordx2 v[24:25], v0, s[12:13]
	v_lshlrev_b32_sdwa v0, v13, v5 dst_sel:DWORD dst_unused:UNUSED_PAD src0_sel:DWORD src1_sel:BYTE_0
	v_lshlrev_b32_sdwa v1, v13, v5 dst_sel:DWORD dst_unused:UNUSED_PAD src0_sel:DWORD src1_sel:BYTE_1
	global_load_dwordx2 v[22:23], v0, s[12:13]
	global_load_dwordx2 v[26:27], v1, s[12:13] offset:2048
	v_bfe_u32 v0, v4, 16, 8
	v_or_b32_e32 v4, 0x50, v56
	v_lshl_or_b32 v0, v0, 3, v59
	v_mul_lo_u32 v11, v12, v4
	v_bfe_u32 v4, v5, 16, 8
	global_load_dwordx2 v[0:1], v0, s[12:13]
	v_or_b32_e32 v10, 0x60, v56
	v_lshl_or_b32 v4, v4, 3, v59
	global_load_dwordx2 v[6:7], v4, s[12:13]
	v_lshlrev_b32_sdwa v14, v13, v11 dst_sel:DWORD dst_unused:UNUSED_PAD src0_sel:DWORD src1_sel:BYTE_0
	v_lshlrev_b32_sdwa v15, v13, v11 dst_sel:DWORD dst_unused:UNUSED_PAD src0_sel:DWORD src1_sel:BYTE_1
	global_load_dwordx2 v[4:5], v14, s[12:13]
	global_load_dwordx2 v[8:9], v15, s[12:13] offset:2048
	v_mul_lo_u32 v18, v12, v10
	v_bfe_u32 v10, v11, 16, 8
	v_lshl_or_b32 v10, v10, 3, v59
	global_load_dwordx2 v[14:15], v10, s[12:13]
	v_lshlrev_b32_sdwa v19, v13, v18 dst_sel:DWORD dst_unused:UNUSED_PAD src0_sel:DWORD src1_sel:BYTE_0
	v_lshlrev_b32_sdwa v20, v13, v18 dst_sel:DWORD dst_unused:UNUSED_PAD src0_sel:DWORD src1_sel:BYTE_1
	global_load_dwordx2 v[10:11], v19, s[12:13]
	global_load_dwordx2 v[16:17], v20, s[12:13] offset:2048
	v_or_b32_e32 v19, 0x70, v56
	v_mul_lo_u32 v64, v12, v19
	v_bfe_u32 v12, v18, 16, 8
	v_lshl_or_b32 v12, v12, 3, v59
	v_lshlrev_b32_sdwa v60, v13, v64 dst_sel:DWORD dst_unused:UNUSED_PAD src0_sel:DWORD src1_sel:BYTE_0
	global_load_dwordx2 v[18:19], v12, s[12:13]
	v_lshlrev_b32_sdwa v61, v13, v64 dst_sel:DWORD dst_unused:UNUSED_PAD src0_sel:DWORD src1_sel:BYTE_1
	global_load_dwordx2 v[12:13], v60, s[12:13]
	global_load_dwordx2 v[20:21], v61, s[12:13] offset:2048
	v_mul_u32_u24_e32 v60, 7, v56
	v_lshlrev_b32_e32 v65, 3, v60
	global_load_dwordx4 v[60:63], v65, s[26:27]
	s_waitcnt vmcnt(22)
	v_mul_f32_e32 v66, v45, v47
	v_mul_f32_e32 v67, v44, v47
	v_fma_f32 v66, v44, v46, -v66
	v_fmac_f32_e32 v67, v45, v46
	global_load_dwordx4 v[44:47], v65, s[26:27] offset:16
	s_waitcnt vmcnt(22)
	v_mul_f32_e32 v68, v67, v41
	v_fma_f32 v68, v40, v66, -v68
	v_mul_f32_e32 v66, v66, v41
	v_fmac_f32_e32 v66, v40, v67
	s_waitcnt vmcnt(20)
	v_mul_f32_e32 v40, v39, v43
	v_mul_f32_e32 v69, v38, v43
	v_fma_f32 v67, v38, v42, -v40
	v_fmac_f32_e32 v69, v39, v42
	global_load_dwordx4 v[38:41], v65, s[26:27] offset:32
	s_waitcnt vmcnt(19)
	v_mul_f32_e32 v42, v2, v30
	v_fma_f32 v70, -v3, v31, v42
	v_pk_mul_f32 v[42:43], v[2:3], v[30:31] op_sel:[1,0] op_sel_hi:[0,1]
	global_load_dwordx2 v[2:3], v65, s[26:27] offset:48
	s_waitcnt vmcnt(19)
	v_mul_f32_e32 v30, v69, v35
	v_fma_f32 v65, v34, v67, -v30
	v_mul_f32_e32 v67, v67, v35
	s_waitcnt vmcnt(17)
	v_mul_f32_e32 v30, v33, v37
	v_mul_f32_e32 v35, v32, v37
	v_fmac_f32_e32 v67, v34, v69
	v_fma_f32 v34, v32, v36, -v30
	v_fmac_f32_e32 v35, v33, v36
	s_waitcnt vmcnt(16)
	v_mul_f32_e32 v36, v35, v25
	v_mul_f32_e32 v25, v34, v25
	v_fma_f32 v69, v24, v34, -v36
	v_fmac_f32_e32 v25, v24, v35
	s_waitcnt vmcnt(14)
	v_mul_f32_e32 v24, v23, v27
	v_mul_f32_e32 v27, v22, v27
	v_fmac_f32_e32 v27, v23, v26
	v_add_f32_e32 v23, v42, v43
	v_fma_f32 v71, v22, v26, -v24
	s_waitcnt vmcnt(13)
	v_mul_f32_e32 v22, v70, v1
	v_mul_f32_e32 v1, v23, v1
	v_fmac_f32_e32 v22, v0, v23
	v_fma_f32 v24, v0, v70, -v1
	s_waitcnt vmcnt(12)
	v_mul_f32_e32 v0, v27, v7
	v_fma_f32 v70, v6, v71, -v0
	s_waitcnt vmcnt(10)
	v_mul_f32_e32 v1, v4, v9
	v_mul_f32_e32 v0, v5, v9
	v_fmac_f32_e32 v1, v5, v8
	v_fma_f32 v0, v4, v8, -v0
	s_waitcnt vmcnt(9)
	v_mul_f32_e32 v4, v1, v15
	v_mul_f32_e32 v23, v71, v7
	v_fma_f32 v71, v14, v0, -v4
	v_mul_f32_e32 v72, v0, v15
	s_waitcnt vmcnt(7)
	v_mul_f32_e32 v0, v11, v17
	v_fma_f32 v4, v10, v16, -v0
	v_bfe_u32 v0, v64, 16, 8
	v_lshl_or_b32 v0, v0, 3, v59
	v_fmac_f32_e32 v72, v14, v1
	global_load_dwordx2 v[0:1], v0, s[12:13]
	ds_read2_b64 v[30:33], v57 offset0:16 offset1:32
	ds_read2_b64 v[34:37], v57 offset0:48 offset1:64
	v_mul_f32_e32 v5, v10, v17
	v_fmac_f32_e32 v5, v11, v16
	s_waitcnt vmcnt(7)
	v_mul_f32_e32 v8, v4, v19
	v_fmac_f32_e32 v23, v6, v27
	v_mul_f32_e32 v6, v5, v19
	v_fmac_f32_e32 v8, v18, v5
	s_waitcnt vmcnt(5)
	v_mul_f32_e32 v5, v12, v20
	v_mul_f32_e32 v7, v13, v21
	;; [unrolled: 1-line block ×4, first 2 shown]
	s_waitcnt vmcnt(4) lgkmcnt(1)
	v_pk_mul_f32 v[12:13], v[60:61], v[30:31] op_sel:[0,1]
	v_pk_mul_f32 v[16:17], v[62:63], v[32:33] op_sel:[0,1]
	v_pk_fma_f32 v[14:15], v[60:61], v[30:31], v[12:13] op_sel:[0,0,1] op_sel_hi:[1,1,0] neg_lo:[0,0,1] neg_hi:[0,0,1]
	v_pk_fma_f32 v[12:13], v[60:61], v[30:31], v[12:13] op_sel:[0,0,1] op_sel_hi:[1,0,0]
	v_fma_f32 v6, v18, v4, -v6
	v_pk_fma_f32 v[18:19], v[62:63], v[32:33], v[16:17] op_sel:[0,0,1] op_sel_hi:[1,1,0] neg_lo:[0,0,1] neg_hi:[0,0,1]
	v_pk_fma_f32 v[16:17], v[62:63], v[32:33], v[16:17] op_sel:[0,0,1] op_sel_hi:[1,0,0]
	v_mov_b32_e32 v15, v13
	v_mov_b32_e32 v19, v17
	s_waitcnt vmcnt(3) lgkmcnt(0)
	v_pk_mul_f32 v[20:21], v[44:45], v[34:35] op_sel:[0,1]
	v_pk_mul_f32 v[30:31], v[46:47], v[36:37] op_sel:[0,1]
	v_pk_fma_f32 v[26:27], v[44:45], v[34:35], v[20:21] op_sel:[0,0,1] op_sel_hi:[1,1,0] neg_lo:[0,0,1] neg_hi:[0,0,1]
	v_pk_fma_f32 v[20:21], v[44:45], v[34:35], v[20:21] op_sel:[0,0,1] op_sel_hi:[1,0,0]
	v_pk_fma_f32 v[32:33], v[46:47], v[36:37], v[30:31] op_sel:[0,0,1] op_sel_hi:[1,1,0] neg_lo:[0,0,1] neg_hi:[0,0,1]
	v_pk_fma_f32 v[30:31], v[46:47], v[36:37], v[30:31] op_sel:[0,0,1] op_sel_hi:[1,0,0]
	ds_read2_b32 v[34:35], v57 offset0:192 offset1:193
	ds_read_b64 v[36:37], v57 offset:896
	ds_read_b64 v[42:43], v57 offset:640
	ds_read_b64 v[44:45], v58
	v_mov_b32_e32 v27, v21
	s_waitcnt lgkmcnt(3)
	v_mov_b32_e32 v4, v35
	v_mov_b32_e32 v33, v31
	s_waitcnt vmcnt(2) lgkmcnt(1)
	v_pk_mul_f32 v[12:13], v[38:39], v[42:43] op_sel:[0,1]
	s_waitcnt lgkmcnt(0)
	v_pk_fma_f32 v[16:17], v[38:39], v[42:43], v[12:13] op_sel:[0,0,1] op_sel_hi:[1,1,0] neg_lo:[0,0,1] neg_hi:[0,0,1]
	v_pk_fma_f32 v[12:13], v[38:39], v[42:43], v[12:13] op_sel:[0,0,1] op_sel_hi:[1,0,0]
	s_barrier
	v_mov_b32_e32 v17, v13
	v_pk_mul_f32 v[12:13], v[4:5], v[40:41] op_sel_hi:[0,1]
	v_pk_fma_f32 v[20:21], v[40:41], v[34:35], v[12:13] op_sel:[0,0,1] op_sel_hi:[1,1,0] neg_lo:[0,0,1] neg_hi:[0,0,1]
	v_pk_fma_f32 v[12:13], v[40:41], v[34:35], v[12:13] op_sel:[0,0,1] op_sel_hi:[1,0,0]
	v_pk_add_f32 v[16:17], v[14:15], v[16:17] neg_lo:[0,1] neg_hi:[0,1]
	v_mov_b32_e32 v21, v13
	s_waitcnt vmcnt(1)
	v_pk_mul_f32 v[12:13], v[36:37], v[2:3] op_sel:[0,1]
	v_pk_add_f32 v[20:21], v[18:19], v[20:21] neg_lo:[0,1] neg_hi:[0,1]
	v_pk_fma_f32 v[30:31], v[36:37], v[2:3], v[12:13] op_sel:[0,0,1] op_sel_hi:[1,1,0] neg_lo:[0,0,1] neg_hi:[0,0,1]
	v_pk_fma_f32 v[2:3], v[36:37], v[2:3], v[12:13] op_sel:[0,0,1] op_sel_hi:[1,0,0]
	v_mov_b32_e32 v4, v21
	v_mov_b32_e32 v31, v3
	v_pk_add_f32 v[2:3], v[44:45], v[32:33] neg_lo:[0,1] neg_hi:[0,1]
	v_pk_add_f32 v[30:31], v[26:27], v[30:31] neg_lo:[0,1] neg_hi:[0,1]
	;; [unrolled: 1-line block ×3, first 2 shown]
	v_mov_b32_e32 v4, v3
	v_pk_fma_f32 v[12:13], v[44:45], 2.0, v[2:3] op_sel_hi:[1,0,1] neg_lo:[0,0,1] neg_hi:[0,0,1]
	v_pk_fma_f32 v[18:19], v[18:19], 2.0, v[20:21] op_sel_hi:[1,0,1] neg_lo:[0,0,1] neg_hi:[0,0,1]
	;; [unrolled: 1-line block ×4, first 2 shown]
	v_pk_add_f32 v[20:21], v[4:5], v[20:21]
	v_pk_add_f32 v[18:19], v[12:13], v[18:19] neg_lo:[0,1] neg_hi:[0,1]
	v_fma_f32 v34, v2, 2.0, -v32
	v_fma_f32 v35, v3, 2.0, -v20
	v_pk_add_f32 v[2:3], v[14:15], v[26:27] neg_lo:[0,1] neg_hi:[0,1]
	v_pk_fma_f32 v[12:13], v[12:13], 2.0, v[18:19] op_sel_hi:[1,0,1] neg_lo:[0,0,1] neg_hi:[0,0,1]
	v_pk_fma_f32 v[14:15], v[14:15], 2.0, v[2:3] op_sel_hi:[1,0,1] neg_lo:[0,0,1] neg_hi:[0,0,1]
	v_sub_f32_e32 v4, v18, v3
	v_pk_add_f32 v[14:15], v[12:13], v[14:15] neg_lo:[0,1] neg_hi:[0,1]
	v_add_f32_e32 v10, v19, v2
	v_pk_fma_f32 v[12:13], v[12:13], 2.0, v[14:15] op_sel_hi:[1,0,1] neg_lo:[0,0,1] neg_hi:[0,0,1]
	v_fma_f32 v26, v18, 2.0, -v4
	v_pk_mul_f32 v[2:3], v[12:13], v[22:23] op_sel_hi:[1,0]
	v_fma_f32 v27, v19, 2.0, -v10
	v_pk_fma_f32 v[18:19], v[12:13], v[24:25], v[2:3] op_sel:[0,0,1] op_sel_hi:[1,1,0] neg_lo:[0,0,1] neg_hi:[0,0,1]
	v_pk_fma_f32 v[2:3], v[12:13], v[24:25], v[2:3] op_sel:[0,0,1] op_sel_hi:[1,0,0]
	v_mul_f32_e32 v13, v26, v67
	v_mul_f32_e32 v2, v27, v67
	v_fma_f32 v12, v26, v65, -v2
	v_mul_f32_e32 v2, v15, v23
	v_mul_f32_e32 v23, v14, v23
	v_fma_f32 v22, v14, v70, -v2
	v_fmac_f32_e32 v23, v15, v70
	v_mul_f32_e32 v2, v10, v8
	v_mul_f32_e32 v15, v4, v8
	v_fma_f32 v14, v4, v6, -v2
	v_fmac_f32_e32 v15, v10, v6
	v_mov_b32_e32 v8, v17
	v_mov_b32_e32 v10, v30
	;; [unrolled: 1-line block ×5, first 2 shown]
	v_pk_add_f32 v[2:3], v[8:9], v[10:11]
	v_pk_add_f32 v[4:5], v[4:5], v[6:7] neg_lo:[0,1] neg_hi:[0,1]
	v_fma_f32 v7, v17, 2.0, -v2
	v_fma_f32 v6, v16, 2.0, -v4
	v_fmamk_f32 v11, v6, 0xbf3504f3, v34
	v_fmamk_f32 v16, v7, 0xbf3504f3, v35
	v_fmac_f32_e32 v11, 0xbf3504f3, v7
	v_fmac_f32_e32 v16, 0x3f3504f3, v6
	v_mov_b32_e32 v6, 0x3f3504f3
	s_waitcnt vmcnt(0)
	v_mov_b32_e32 v7, v1
	v_mov_b32_e32 v8, v32
	;; [unrolled: 1-line block ×3, first 2 shown]
	v_mul_f32_e32 v10, v0, v3
	v_pk_fma_f32 v[0:1], v[4:5], v[6:7], v[32:33]
	v_pk_mul_f32 v[8:9], v[8:9], v[4:5]
	v_fma_f32 v24, v35, 2.0, -v16
	v_mov_b32_e32 v1, v9
	v_pk_fma_f32 v[8:9], v[2:3], v[6:7], v[20:21]
	v_pk_fma_f32 v[0:1], v[2:3], v[6:7], v[0:1] neg_lo:[1,0,0] neg_hi:[1,0,0]
	v_mov_b32_e32 v9, v10
	v_pk_fma_f32 v[2:3], v[4:5], v[6:7], v[8:9]
	v_fma_f32 v7, v32, 2.0, -v0
	v_fma_f32 v8, v20, 2.0, -v2
	v_mul_f32_e32 v6, v8, v25
	v_fma_f32 v17, v34, 2.0, -v11
	v_mul_f32_e32 v4, v24, v66
	v_fma_f32 v6, v7, v69, -v6
	v_mul_f32_e32 v7, v7, v25
	v_mul_f32_e32 v9, v11, v72
	v_fma_f32 v4, v17, v68, -v4
	v_mul_f32_e32 v5, v17, v66
	v_fmac_f32_e32 v7, v8, v69
	v_mul_f32_e32 v8, v16, v72
	v_fmac_f32_e32 v9, v16, v71
	v_mov_b32_e32 v16, v3
	v_mov_b32_e32 v17, v0
	v_fma_f32 v8, v11, v71, -v8
	v_mov_b32_e32 v10, v1
	v_mov_b32_e32 v11, v2
	v_pk_mul_f32 v[2:3], v[2:3], v[16:17]
	v_fmac_f32_e32 v5, v24, v68
	v_pk_fma_f32 v[16:17], v[0:1], v[10:11], v[2:3] neg_lo:[0,0,1] neg_hi:[0,0,1]
	v_pk_fma_f32 v[0:1], v[0:1], v[10:11], v[2:3]
	v_fmac_f32_e32 v13, v27, v65
	v_mov_b32_e32 v17, v1
	ds_write2_b64 v57, v[18:19], v[4:5] offset1:16
	ds_write2_b64 v57, v[12:13], v[6:7] offset0:32 offset1:48
	ds_write2_b64 v57, v[22:23], v[8:9] offset0:64 offset1:80
	;; [unrolled: 1-line block ×3, first 2 shown]
	s_waitcnt lgkmcnt(0)
	s_barrier
	s_and_saveexec_b64 s[8:9], s[0:1]
	s_cbranch_execz .LBB0_17
; %bb.16:
	s_mul_i32 s0, s3, s24
	s_mul_hi_u32 s1, s2, s24
	s_add_i32 s1, s1, s0
	s_mul_i32 s0, s2, s24
	v_mad_u64_u32 v[0:1], s[2:3], s6, v56, 0
	v_mov_b32_e32 v2, v1
	v_mad_u64_u32 v[2:3], s[2:3], s7, v56, v[2:3]
	v_mov_b32_e32 v1, v2
	;; [unrolled: 2-line block ×4, first 2 shown]
	v_or_b32_e32 v4, v53, v48
	v_lshl_add_u32 v6, v4, 3, 0
	s_lshl_b64 s[0:1], s[0:1], 3
	s_add_u32 s0, s10, s0
	ds_read_b64 v[6:7], v6
	s_addc_u32 s1, s11, s1
	v_lshlrev_b64 v[4:5], 3, v[28:29]
	v_lshl_add_u64 v[4:5], s[0:1], 0, v[4:5]
	v_lshl_add_u64 v[4:5], v[0:1], 3, v[4:5]
	;; [unrolled: 1-line block ×3, first 2 shown]
	v_add3_u32 v12, 0, v54, v55
	ds_read_b64 v[8:9], v12 offset:896
	s_waitcnt lgkmcnt(1)
	global_store_dwordx2 v[0:1], v[6:7], off
	v_add_u32_e32 v0, v53, v48
	v_lshl_add_u32 v13, v0, 3, 0
	v_mad_u64_u32 v[6:7], s[0:1], s4, v52, 0
	ds_read2_b64 v[0:3], v13 offset0:16 offset1:32
	v_mov_b32_e32 v10, v7
	v_mad_u64_u32 v[10:11], s[0:1], s5, v52, v[10:11]
	v_mov_b32_e32 v7, v10
	v_lshl_add_u64 v[6:7], v[6:7], 3, v[4:5]
	s_waitcnt lgkmcnt(0)
	global_store_dwordx2 v[6:7], v[0:1], off
	v_mad_u64_u32 v[0:1], s[0:1], s4, v51, 0
	v_mov_b32_e32 v6, v1
	v_mad_u64_u32 v[6:7], s[0:1], s5, v51, v[6:7]
	v_mov_b32_e32 v1, v6
	v_lshl_add_u64 v[0:1], v[0:1], 3, v[4:5]
	global_store_dwordx2 v[0:1], v[2:3], off
	v_mad_u64_u32 v[6:7], s[0:1], s4, v50, 0
	ds_read2_b64 v[0:3], v13 offset0:48 offset1:64
	v_mov_b32_e32 v10, v7
	v_mad_u64_u32 v[10:11], s[0:1], s5, v50, v[10:11]
	v_mov_b32_e32 v7, v10
	v_lshl_add_u64 v[6:7], v[6:7], 3, v[4:5]
	s_waitcnt lgkmcnt(0)
	global_store_dwordx2 v[6:7], v[0:1], off
	v_mad_u64_u32 v[0:1], s[0:1], s4, v49, 0
	v_mov_b32_e32 v6, v1
	v_mad_u64_u32 v[6:7], s[0:1], s5, v49, v[6:7]
	v_mov_b32_e32 v1, v6
	v_lshl_add_u64 v[0:1], v[0:1], 3, v[4:5]
	v_add_u32_e32 v11, 0x50, v48
	global_store_dwordx2 v[0:1], v[2:3], off
	v_mad_u64_u32 v[6:7], s[0:1], s4, v11, 0
	ds_read2_b64 v[0:3], v12 offset0:80 offset1:96
	v_mov_b32_e32 v10, v7
	v_mad_u64_u32 v[10:11], s[0:1], s5, v11, v[10:11]
	v_mov_b32_e32 v7, v10
	v_lshl_add_u64 v[6:7], v[6:7], 3, v[4:5]
	s_waitcnt lgkmcnt(0)
	global_store_dwordx2 v[6:7], v[0:1], off
	v_add_u32_e32 v7, 0x60, v48
	v_mad_u64_u32 v[0:1], s[0:1], s4, v7, 0
	v_mov_b32_e32 v6, v1
	v_mad_u64_u32 v[6:7], s[0:1], s5, v7, v[6:7]
	v_mov_b32_e32 v1, v6
	v_lshl_add_u64 v[0:1], v[0:1], 3, v[4:5]
	global_store_dwordx2 v[0:1], v[2:3], off
	v_add_u32_e32 v3, 0x70, v48
	v_mad_u64_u32 v[0:1], s[0:1], s4, v3, 0
	v_mov_b32_e32 v2, v1
	v_mad_u64_u32 v[2:3], s[0:1], s5, v3, v[2:3]
	v_mov_b32_e32 v1, v2
	v_lshl_add_u64 v[0:1], v[0:1], 3, v[4:5]
	global_store_dwordx2 v[0:1], v[8:9], off
.LBB0_17:
	s_endpgm
	.section	.rodata,"a",@progbits
	.p2align	6, 0x0
	.amdhsa_kernel fft_rtc_fwd_len128_factors_16_8_wgs_256_tpt_16_sp_op_CI_CI_sbcc_twdbase8_3step
		.amdhsa_group_segment_fixed_size 0
		.amdhsa_private_segment_fixed_size 0
		.amdhsa_kernarg_size 112
		.amdhsa_user_sgpr_count 2
		.amdhsa_user_sgpr_dispatch_ptr 0
		.amdhsa_user_sgpr_queue_ptr 0
		.amdhsa_user_sgpr_kernarg_segment_ptr 1
		.amdhsa_user_sgpr_dispatch_id 0
		.amdhsa_user_sgpr_kernarg_preload_length 0
		.amdhsa_user_sgpr_kernarg_preload_offset 0
		.amdhsa_user_sgpr_private_segment_size 0
		.amdhsa_uses_dynamic_stack 0
		.amdhsa_enable_private_segment 0
		.amdhsa_system_sgpr_workgroup_id_x 1
		.amdhsa_system_sgpr_workgroup_id_y 0
		.amdhsa_system_sgpr_workgroup_id_z 0
		.amdhsa_system_sgpr_workgroup_info 0
		.amdhsa_system_vgpr_workitem_id 0
		.amdhsa_next_free_vgpr 73
		.amdhsa_next_free_sgpr 53
		.amdhsa_accum_offset 76
		.amdhsa_reserve_vcc 1
		.amdhsa_float_round_mode_32 0
		.amdhsa_float_round_mode_16_64 0
		.amdhsa_float_denorm_mode_32 3
		.amdhsa_float_denorm_mode_16_64 3
		.amdhsa_dx10_clamp 1
		.amdhsa_ieee_mode 1
		.amdhsa_fp16_overflow 0
		.amdhsa_tg_split 0
		.amdhsa_exception_fp_ieee_invalid_op 0
		.amdhsa_exception_fp_denorm_src 0
		.amdhsa_exception_fp_ieee_div_zero 0
		.amdhsa_exception_fp_ieee_overflow 0
		.amdhsa_exception_fp_ieee_underflow 0
		.amdhsa_exception_fp_ieee_inexact 0
		.amdhsa_exception_int_div_zero 0
	.end_amdhsa_kernel
	.text
.Lfunc_end0:
	.size	fft_rtc_fwd_len128_factors_16_8_wgs_256_tpt_16_sp_op_CI_CI_sbcc_twdbase8_3step, .Lfunc_end0-fft_rtc_fwd_len128_factors_16_8_wgs_256_tpt_16_sp_op_CI_CI_sbcc_twdbase8_3step
                                        ; -- End function
	.section	.AMDGPU.csdata,"",@progbits
; Kernel info:
; codeLenInByte = 5476
; NumSgprs: 59
; NumVgprs: 73
; NumAgprs: 0
; TotalNumVgprs: 73
; ScratchSize: 0
; MemoryBound: 0
; FloatMode: 240
; IeeeMode: 1
; LDSByteSize: 0 bytes/workgroup (compile time only)
; SGPRBlocks: 7
; VGPRBlocks: 9
; NumSGPRsForWavesPerEU: 59
; NumVGPRsForWavesPerEU: 73
; AccumOffset: 76
; Occupancy: 6
; WaveLimiterHint : 1
; COMPUTE_PGM_RSRC2:SCRATCH_EN: 0
; COMPUTE_PGM_RSRC2:USER_SGPR: 2
; COMPUTE_PGM_RSRC2:TRAP_HANDLER: 0
; COMPUTE_PGM_RSRC2:TGID_X_EN: 1
; COMPUTE_PGM_RSRC2:TGID_Y_EN: 0
; COMPUTE_PGM_RSRC2:TGID_Z_EN: 0
; COMPUTE_PGM_RSRC2:TIDIG_COMP_CNT: 0
; COMPUTE_PGM_RSRC3_GFX90A:ACCUM_OFFSET: 18
; COMPUTE_PGM_RSRC3_GFX90A:TG_SPLIT: 0
	.text
	.p2alignl 6, 3212836864
	.fill 256, 4, 3212836864
	.type	__hip_cuid_13a45b308b25e9a3,@object ; @__hip_cuid_13a45b308b25e9a3
	.section	.bss,"aw",@nobits
	.globl	__hip_cuid_13a45b308b25e9a3
__hip_cuid_13a45b308b25e9a3:
	.byte	0                               ; 0x0
	.size	__hip_cuid_13a45b308b25e9a3, 1

	.ident	"AMD clang version 19.0.0git (https://github.com/RadeonOpenCompute/llvm-project roc-6.4.0 25133 c7fe45cf4b819c5991fe208aaa96edf142730f1d)"
	.section	".note.GNU-stack","",@progbits
	.addrsig
	.addrsig_sym __hip_cuid_13a45b308b25e9a3
	.amdgpu_metadata
---
amdhsa.kernels:
  - .agpr_count:     0
    .args:
      - .actual_access:  read_only
        .address_space:  global
        .offset:         0
        .size:           8
        .value_kind:     global_buffer
      - .address_space:  global
        .offset:         8
        .size:           8
        .value_kind:     global_buffer
      - .offset:         16
        .size:           8
        .value_kind:     by_value
      - .actual_access:  read_only
        .address_space:  global
        .offset:         24
        .size:           8
        .value_kind:     global_buffer
      - .actual_access:  read_only
        .address_space:  global
        .offset:         32
        .size:           8
        .value_kind:     global_buffer
      - .actual_access:  read_only
        .address_space:  global
        .offset:         40
        .size:           8
        .value_kind:     global_buffer
      - .offset:         48
        .size:           8
        .value_kind:     by_value
      - .actual_access:  read_only
        .address_space:  global
        .offset:         56
        .size:           8
        .value_kind:     global_buffer
      - .actual_access:  read_only
        .address_space:  global
        .offset:         64
        .size:           8
        .value_kind:     global_buffer
      - .offset:         72
        .size:           4
        .value_kind:     by_value
      - .actual_access:  read_only
        .address_space:  global
        .offset:         80
        .size:           8
        .value_kind:     global_buffer
      - .actual_access:  read_only
        .address_space:  global
        .offset:         88
        .size:           8
        .value_kind:     global_buffer
      - .actual_access:  read_only
        .address_space:  global
        .offset:         96
        .size:           8
        .value_kind:     global_buffer
      - .actual_access:  write_only
        .address_space:  global
        .offset:         104
        .size:           8
        .value_kind:     global_buffer
    .group_segment_fixed_size: 0
    .kernarg_segment_align: 8
    .kernarg_segment_size: 112
    .language:       OpenCL C
    .language_version:
      - 2
      - 0
    .max_flat_workgroup_size: 256
    .name:           fft_rtc_fwd_len128_factors_16_8_wgs_256_tpt_16_sp_op_CI_CI_sbcc_twdbase8_3step
    .private_segment_fixed_size: 0
    .sgpr_count:     59
    .sgpr_spill_count: 0
    .symbol:         fft_rtc_fwd_len128_factors_16_8_wgs_256_tpt_16_sp_op_CI_CI_sbcc_twdbase8_3step.kd
    .uniform_work_group_size: 1
    .uses_dynamic_stack: false
    .vgpr_count:     73
    .vgpr_spill_count: 0
    .wavefront_size: 64
amdhsa.target:   amdgcn-amd-amdhsa--gfx950
amdhsa.version:
  - 1
  - 2
...

	.end_amdgpu_metadata
